;; amdgpu-corpus repo=ROCm/rocFFT kind=compiled arch=gfx1201 opt=O3
	.text
	.amdgcn_target "amdgcn-amd-amdhsa--gfx1201"
	.amdhsa_code_object_version 6
	.protected	fft_rtc_fwd_len90_factors_3_3_10_wgs_63_tpt_9_halfLds_sp_ip_CI_unitstride_sbrr_dirReg ; -- Begin function fft_rtc_fwd_len90_factors_3_3_10_wgs_63_tpt_9_halfLds_sp_ip_CI_unitstride_sbrr_dirReg
	.globl	fft_rtc_fwd_len90_factors_3_3_10_wgs_63_tpt_9_halfLds_sp_ip_CI_unitstride_sbrr_dirReg
	.p2align	8
	.type	fft_rtc_fwd_len90_factors_3_3_10_wgs_63_tpt_9_halfLds_sp_ip_CI_unitstride_sbrr_dirReg,@function
fft_rtc_fwd_len90_factors_3_3_10_wgs_63_tpt_9_halfLds_sp_ip_CI_unitstride_sbrr_dirReg: ; @fft_rtc_fwd_len90_factors_3_3_10_wgs_63_tpt_9_halfLds_sp_ip_CI_unitstride_sbrr_dirReg
; %bb.0:
	s_load_b128 s[4:7], s[0:1], 0x0
	v_mul_u32_u24_e32 v1, 0x1c72, v0
	s_clause 0x1
	s_load_b64 s[8:9], s[0:1], 0x50
	s_load_b64 s[10:11], s[0:1], 0x18
	v_mov_b32_e32 v3, 0
	v_lshrrev_b32_e32 v1, 16, v1
	s_delay_alu instid0(VALU_DEP_1) | instskip(SKIP_1) | instid1(VALU_DEP_4)
	v_mad_co_u64_u32 v[6:7], null, ttmp9, 7, v[1:2]
	v_mov_b32_e32 v1, 0
	v_dual_mov_b32 v2, 0 :: v_dual_mov_b32 v7, v3
	s_delay_alu instid0(VALU_DEP_3) | instskip(SKIP_2) | instid1(VALU_DEP_3)
	v_mov_b32_e32 v4, v6
	s_wait_kmcnt 0x0
	v_cmp_lt_u64_e64 s2, s[6:7], 2
	v_mov_b32_e32 v5, v7
	s_delay_alu instid0(VALU_DEP_2)
	s_and_b32 vcc_lo, exec_lo, s2
	s_cbranch_vccnz .LBB0_8
; %bb.1:
	s_load_b64 s[2:3], s[0:1], 0x10
	v_dual_mov_b32 v1, 0 :: v_dual_mov_b32 v8, v7
	v_dual_mov_b32 v2, 0 :: v_dual_mov_b32 v7, v6
	s_add_nc_u64 s[12:13], s[10:11], 8
	s_mov_b64 s[14:15], 1
	s_wait_kmcnt 0x0
	s_add_nc_u64 s[16:17], s[2:3], 8
	s_mov_b32 s3, 0
.LBB0_2:                                ; =>This Inner Loop Header: Depth=1
	s_load_b64 s[18:19], s[16:17], 0x0
	s_wait_kmcnt 0x0
	s_delay_alu instid0(VALU_DEP_1) | instskip(NEXT) | instid1(VALU_DEP_1)
	v_or_b32_e32 v4, s19, v8
	v_cmp_ne_u64_e32 vcc_lo, 0, v[3:4]
                                        ; implicit-def: $vgpr4_vgpr5
	s_and_saveexec_b32 s2, vcc_lo
	s_wait_alu 0xfffe
	s_xor_b32 s20, exec_lo, s2
	s_cbranch_execz .LBB0_4
; %bb.3:                                ;   in Loop: Header=BB0_2 Depth=1
	s_cvt_f32_u32 s2, s18
	s_cvt_f32_u32 s21, s19
	s_sub_nc_u64 s[24:25], 0, s[18:19]
	s_wait_alu 0xfffe
	s_delay_alu instid0(SALU_CYCLE_1) | instskip(SKIP_1) | instid1(SALU_CYCLE_2)
	s_fmamk_f32 s2, s21, 0x4f800000, s2
	s_wait_alu 0xfffe
	v_s_rcp_f32 s2, s2
	s_delay_alu instid0(TRANS32_DEP_1) | instskip(SKIP_1) | instid1(SALU_CYCLE_2)
	s_mul_f32 s2, s2, 0x5f7ffffc
	s_wait_alu 0xfffe
	s_mul_f32 s21, s2, 0x2f800000
	s_wait_alu 0xfffe
	s_delay_alu instid0(SALU_CYCLE_2) | instskip(SKIP_1) | instid1(SALU_CYCLE_2)
	s_trunc_f32 s21, s21
	s_wait_alu 0xfffe
	s_fmamk_f32 s2, s21, 0xcf800000, s2
	s_cvt_u32_f32 s23, s21
	s_wait_alu 0xfffe
	s_delay_alu instid0(SALU_CYCLE_1) | instskip(SKIP_1) | instid1(SALU_CYCLE_2)
	s_cvt_u32_f32 s22, s2
	s_wait_alu 0xfffe
	s_mul_u64 s[26:27], s[24:25], s[22:23]
	s_wait_alu 0xfffe
	s_mul_hi_u32 s29, s22, s27
	s_mul_i32 s28, s22, s27
	s_mul_hi_u32 s2, s22, s26
	s_mul_i32 s30, s23, s26
	s_wait_alu 0xfffe
	s_add_nc_u64 s[28:29], s[2:3], s[28:29]
	s_mul_hi_u32 s21, s23, s26
	s_mul_hi_u32 s31, s23, s27
	s_add_co_u32 s2, s28, s30
	s_wait_alu 0xfffe
	s_add_co_ci_u32 s2, s29, s21
	s_mul_i32 s26, s23, s27
	s_add_co_ci_u32 s27, s31, 0
	s_wait_alu 0xfffe
	s_add_nc_u64 s[26:27], s[2:3], s[26:27]
	s_wait_alu 0xfffe
	v_add_co_u32 v4, s2, s22, s26
	s_delay_alu instid0(VALU_DEP_1) | instskip(SKIP_1) | instid1(VALU_DEP_1)
	s_cmp_lg_u32 s2, 0
	s_add_co_ci_u32 s23, s23, s27
	v_readfirstlane_b32 s22, v4
	s_wait_alu 0xfffe
	s_delay_alu instid0(VALU_DEP_1)
	s_mul_u64 s[24:25], s[24:25], s[22:23]
	s_wait_alu 0xfffe
	s_mul_hi_u32 s27, s22, s25
	s_mul_i32 s26, s22, s25
	s_mul_hi_u32 s2, s22, s24
	s_mul_i32 s28, s23, s24
	s_wait_alu 0xfffe
	s_add_nc_u64 s[26:27], s[2:3], s[26:27]
	s_mul_hi_u32 s21, s23, s24
	s_mul_hi_u32 s22, s23, s25
	s_wait_alu 0xfffe
	s_add_co_u32 s2, s26, s28
	s_add_co_ci_u32 s2, s27, s21
	s_mul_i32 s24, s23, s25
	s_add_co_ci_u32 s25, s22, 0
	s_wait_alu 0xfffe
	s_add_nc_u64 s[24:25], s[2:3], s[24:25]
	s_wait_alu 0xfffe
	v_add_co_u32 v9, s2, v4, s24
	s_delay_alu instid0(VALU_DEP_1) | instskip(SKIP_1) | instid1(VALU_DEP_1)
	s_cmp_lg_u32 s2, 0
	s_add_co_ci_u32 s2, s23, s25
	v_mul_hi_u32 v13, v7, v9
	s_wait_alu 0xfffe
	v_mad_co_u64_u32 v[4:5], null, v7, s2, 0
	v_mad_co_u64_u32 v[9:10], null, v8, v9, 0
	;; [unrolled: 1-line block ×3, first 2 shown]
	s_delay_alu instid0(VALU_DEP_3) | instskip(SKIP_1) | instid1(VALU_DEP_4)
	v_add_co_u32 v4, vcc_lo, v13, v4
	s_wait_alu 0xfffd
	v_add_co_ci_u32_e32 v5, vcc_lo, 0, v5, vcc_lo
	s_delay_alu instid0(VALU_DEP_2) | instskip(SKIP_1) | instid1(VALU_DEP_2)
	v_add_co_u32 v4, vcc_lo, v4, v9
	s_wait_alu 0xfffd
	v_add_co_ci_u32_e32 v4, vcc_lo, v5, v10, vcc_lo
	s_wait_alu 0xfffd
	v_add_co_ci_u32_e32 v5, vcc_lo, 0, v12, vcc_lo
	s_delay_alu instid0(VALU_DEP_2) | instskip(SKIP_1) | instid1(VALU_DEP_2)
	v_add_co_u32 v9, vcc_lo, v4, v11
	s_wait_alu 0xfffd
	v_add_co_ci_u32_e32 v10, vcc_lo, 0, v5, vcc_lo
	s_delay_alu instid0(VALU_DEP_2) | instskip(SKIP_1) | instid1(VALU_DEP_3)
	v_mul_lo_u32 v11, s19, v9
	v_mad_co_u64_u32 v[4:5], null, s18, v9, 0
	v_mul_lo_u32 v12, s18, v10
	s_delay_alu instid0(VALU_DEP_2) | instskip(NEXT) | instid1(VALU_DEP_2)
	v_sub_co_u32 v4, vcc_lo, v7, v4
	v_add3_u32 v5, v5, v12, v11
	s_delay_alu instid0(VALU_DEP_1) | instskip(SKIP_1) | instid1(VALU_DEP_1)
	v_sub_nc_u32_e32 v11, v8, v5
	s_wait_alu 0xfffd
	v_subrev_co_ci_u32_e64 v11, s2, s19, v11, vcc_lo
	v_add_co_u32 v12, s2, v9, 2
	s_wait_alu 0xf1ff
	v_add_co_ci_u32_e64 v13, s2, 0, v10, s2
	v_sub_co_u32 v14, s2, v4, s18
	v_sub_co_ci_u32_e32 v5, vcc_lo, v8, v5, vcc_lo
	s_wait_alu 0xf1ff
	v_subrev_co_ci_u32_e64 v11, s2, 0, v11, s2
	s_delay_alu instid0(VALU_DEP_3) | instskip(NEXT) | instid1(VALU_DEP_3)
	v_cmp_le_u32_e32 vcc_lo, s18, v14
	v_cmp_eq_u32_e64 s2, s19, v5
	s_wait_alu 0xfffd
	v_cndmask_b32_e64 v14, 0, -1, vcc_lo
	v_cmp_le_u32_e32 vcc_lo, s19, v11
	s_wait_alu 0xfffd
	v_cndmask_b32_e64 v15, 0, -1, vcc_lo
	v_cmp_le_u32_e32 vcc_lo, s18, v4
	;; [unrolled: 3-line block ×3, first 2 shown]
	s_wait_alu 0xfffd
	v_cndmask_b32_e64 v16, 0, -1, vcc_lo
	v_cmp_eq_u32_e32 vcc_lo, s19, v11
	s_wait_alu 0xf1ff
	s_delay_alu instid0(VALU_DEP_2)
	v_cndmask_b32_e64 v4, v16, v4, s2
	s_wait_alu 0xfffd
	v_cndmask_b32_e32 v11, v15, v14, vcc_lo
	v_add_co_u32 v14, vcc_lo, v9, 1
	s_wait_alu 0xfffd
	v_add_co_ci_u32_e32 v15, vcc_lo, 0, v10, vcc_lo
	s_delay_alu instid0(VALU_DEP_3) | instskip(SKIP_2) | instid1(VALU_DEP_3)
	v_cmp_ne_u32_e32 vcc_lo, 0, v11
	s_wait_alu 0xfffd
	v_cndmask_b32_e32 v11, v14, v12, vcc_lo
	v_cndmask_b32_e32 v5, v15, v13, vcc_lo
	v_cmp_ne_u32_e32 vcc_lo, 0, v4
	s_wait_alu 0xfffd
	s_delay_alu instid0(VALU_DEP_2)
	v_dual_cndmask_b32 v4, v9, v11 :: v_dual_cndmask_b32 v5, v10, v5
.LBB0_4:                                ;   in Loop: Header=BB0_2 Depth=1
	s_wait_alu 0xfffe
	s_and_not1_saveexec_b32 s2, s20
	s_cbranch_execz .LBB0_6
; %bb.5:                                ;   in Loop: Header=BB0_2 Depth=1
	v_cvt_f32_u32_e32 v4, s18
	s_sub_co_i32 s20, 0, s18
	s_delay_alu instid0(VALU_DEP_1) | instskip(NEXT) | instid1(TRANS32_DEP_1)
	v_rcp_iflag_f32_e32 v4, v4
	v_mul_f32_e32 v4, 0x4f7ffffe, v4
	s_delay_alu instid0(VALU_DEP_1) | instskip(SKIP_1) | instid1(VALU_DEP_1)
	v_cvt_u32_f32_e32 v4, v4
	s_wait_alu 0xfffe
	v_mul_lo_u32 v5, s20, v4
	s_delay_alu instid0(VALU_DEP_1) | instskip(NEXT) | instid1(VALU_DEP_1)
	v_mul_hi_u32 v5, v4, v5
	v_add_nc_u32_e32 v4, v4, v5
	s_delay_alu instid0(VALU_DEP_1) | instskip(NEXT) | instid1(VALU_DEP_1)
	v_mul_hi_u32 v4, v7, v4
	v_mul_lo_u32 v5, v4, s18
	v_add_nc_u32_e32 v9, 1, v4
	s_delay_alu instid0(VALU_DEP_2) | instskip(NEXT) | instid1(VALU_DEP_1)
	v_sub_nc_u32_e32 v5, v7, v5
	v_subrev_nc_u32_e32 v10, s18, v5
	v_cmp_le_u32_e32 vcc_lo, s18, v5
	s_wait_alu 0xfffd
	s_delay_alu instid0(VALU_DEP_2) | instskip(NEXT) | instid1(VALU_DEP_1)
	v_dual_cndmask_b32 v5, v5, v10 :: v_dual_cndmask_b32 v4, v4, v9
	v_cmp_le_u32_e32 vcc_lo, s18, v5
	v_mov_b32_e32 v5, v3
	s_delay_alu instid0(VALU_DEP_3) | instskip(SKIP_1) | instid1(VALU_DEP_1)
	v_add_nc_u32_e32 v9, 1, v4
	s_wait_alu 0xfffd
	v_cndmask_b32_e32 v4, v4, v9, vcc_lo
.LBB0_6:                                ;   in Loop: Header=BB0_2 Depth=1
	s_wait_alu 0xfffe
	s_or_b32 exec_lo, exec_lo, s2
	s_load_b64 s[20:21], s[12:13], 0x0
	v_mul_lo_u32 v11, v5, s18
	v_mul_lo_u32 v12, v4, s19
	v_mad_co_u64_u32 v[9:10], null, v4, s18, 0
	s_add_nc_u64 s[14:15], s[14:15], 1
	s_add_nc_u64 s[12:13], s[12:13], 8
	s_wait_alu 0xfffe
	v_cmp_ge_u64_e64 s2, s[14:15], s[6:7]
	s_add_nc_u64 s[16:17], s[16:17], 8
	s_delay_alu instid0(VALU_DEP_2) | instskip(NEXT) | instid1(VALU_DEP_3)
	v_add3_u32 v10, v10, v12, v11
	v_sub_co_u32 v7, vcc_lo, v7, v9
	s_wait_alu 0xfffd
	s_delay_alu instid0(VALU_DEP_2) | instskip(SKIP_3) | instid1(VALU_DEP_2)
	v_sub_co_ci_u32_e32 v8, vcc_lo, v8, v10, vcc_lo
	s_and_b32 vcc_lo, exec_lo, s2
	s_wait_kmcnt 0x0
	v_mul_lo_u32 v9, s21, v7
	v_mul_lo_u32 v8, s20, v8
	v_mad_co_u64_u32 v[1:2], null, s20, v7, v[1:2]
	s_delay_alu instid0(VALU_DEP_1)
	v_add3_u32 v2, v9, v2, v8
	s_wait_alu 0xfffe
	s_cbranch_vccnz .LBB0_8
; %bb.7:                                ;   in Loop: Header=BB0_2 Depth=1
	v_dual_mov_b32 v8, v5 :: v_dual_mov_b32 v7, v4
	s_branch .LBB0_2
.LBB0_8:
	s_lshl_b64 s[2:3], s[6:7], 3
	v_mul_hi_u32 v3, 0x1c71c71d, v0
	s_wait_alu 0xfffe
	s_add_nc_u64 s[2:3], s[10:11], s[2:3]
                                        ; implicit-def: $vgpr24
                                        ; implicit-def: $vgpr26
                                        ; implicit-def: $vgpr9
                                        ; implicit-def: $vgpr28
                                        ; implicit-def: $vgpr12
                                        ; implicit-def: $vgpr30
                                        ; implicit-def: $vgpr32
                                        ; implicit-def: $vgpr14
                                        ; implicit-def: $vgpr34
                                        ; implicit-def: $vgpr36
                                        ; implicit-def: $vgpr16
	s_load_b64 s[2:3], s[2:3], 0x0
	s_load_b64 s[0:1], s[0:1], 0x20
	s_delay_alu instid0(VALU_DEP_1) | instskip(NEXT) | instid1(VALU_DEP_1)
	v_mul_u32_u24_e32 v3, 9, v3
	v_sub_nc_u32_e32 v3, v0, v3
	s_wait_kmcnt 0x0
	v_mul_lo_u32 v7, s2, v5
	v_mul_lo_u32 v8, s3, v4
	v_mad_co_u64_u32 v[1:2], null, s2, v4, v[1:2]
	v_cmp_gt_u64_e32 vcc_lo, s[0:1], v[4:5]
                                        ; implicit-def: $vgpr5
	s_delay_alu instid0(VALU_DEP_2) | instskip(NEXT) | instid1(VALU_DEP_1)
	v_add3_u32 v2, v8, v2, v7
	v_lshlrev_b64_e32 v[0:1], 3, v[1:2]
	v_mov_b32_e32 v2, 0
	s_and_saveexec_b32 s1, vcc_lo
	s_cbranch_execz .LBB0_12
; %bb.9:
	v_mov_b32_e32 v4, 0
	s_delay_alu instid0(VALU_DEP_3) | instskip(SKIP_2) | instid1(VALU_DEP_3)
	v_add_co_u32 v2, s0, s8, v0
	s_wait_alu 0xf1ff
	v_add_co_ci_u32_e64 v7, s0, s9, v1, s0
	v_lshlrev_b64_e32 v[4:5], 3, v[3:4]
	s_mov_b32 s2, exec_lo
                                        ; implicit-def: $vgpr25
                                        ; implicit-def: $vgpr23
	s_delay_alu instid0(VALU_DEP_1) | instskip(SKIP_1) | instid1(VALU_DEP_2)
	v_add_co_u32 v17, s0, v2, v4
	s_wait_alu 0xf1ff
	v_add_co_ci_u32_e64 v18, s0, v7, v5, s0
                                        ; implicit-def: $vgpr4
	s_clause 0x8
	global_load_b64 v[15:16], v[17:18], off
	global_load_b64 v[13:14], v[17:18], off offset:72
	global_load_b64 v[31:32], v[17:18], off offset:312
	;; [unrolled: 1-line block ×8, first 2 shown]
	v_cmpx_gt_u32_e32 3, v3
; %bb.10:
	s_clause 0x2
	global_load_b64 v[4:5], v[17:18], off offset:216
	global_load_b64 v[25:26], v[17:18], off offset:456
	;; [unrolled: 1-line block ×3, first 2 shown]
; %bb.11:
	s_wait_alu 0xfffe
	s_or_b32 exec_lo, exec_lo, s2
	v_mov_b32_e32 v2, v3
.LBB0_12:
	s_wait_alu 0xfffe
	s_or_b32 exec_lo, exec_lo, s1
	v_mul_hi_u32 v7, 0x24924925, v6
	s_wait_loadcnt 0x2
	v_dual_add_f32 v17, v35, v15 :: v_dual_sub_f32 v18, v36, v34
	v_dual_add_f32 v20, v29, v31 :: v_dual_sub_f32 v21, v32, v30
	s_wait_loadcnt 0x1
	v_dual_add_f32 v22, v27, v11 :: v_dual_add_f32 v39, v25, v4
	s_wait_loadcnt 0x0
	v_dual_add_f32 v37, v8, v27 :: v_dual_add_f32 v40, v23, v25
	v_sub_nc_u32_e32 v10, v6, v7
	v_mad_u32_u24 v41, v3, 12, 0
	v_dual_sub_f32 v43, v26, v24 :: v_dual_add_f32 v44, v33, v17
	s_delay_alu instid0(VALU_DEP_4) | instskip(NEXT) | instid1(VALU_DEP_4)
	v_dual_fmac_f32 v11, -0.5, v37 :: v_dual_fmac_f32 v4, -0.5, v40
	v_lshrrev_b32_e32 v10, 1, v10
	s_delay_alu instid0(VALU_DEP_4)
	v_add_nc_u32_e32 v17, 0xd8, v41
	v_cmp_gt_u32_e64 s0, 3, v3
	v_sub_f32_e32 v38, v28, v9
	v_add_f32_e32 v19, v31, v13
	v_add_nc_u32_e32 v7, v10, v7
	v_add_f32_e32 v10, v33, v35
	s_delay_alu instid0(VALU_DEP_3) | instskip(NEXT) | instid1(VALU_DEP_3)
	v_add_f32_e32 v19, v29, v19
	v_lshrrev_b32_e32 v7, 2, v7
	s_delay_alu instid0(VALU_DEP_3) | instskip(NEXT) | instid1(VALU_DEP_2)
	v_fmac_f32_e32 v15, -0.5, v10
	v_mul_lo_u32 v7, v7, 7
	s_delay_alu instid0(VALU_DEP_1) | instskip(SKIP_2) | instid1(VALU_DEP_3)
	v_sub_nc_u32_e32 v6, v6, v7
	v_fmamk_f32 v7, v43, 0x3f5db3d7, v4
	v_fmac_f32_e32 v4, 0xbf5db3d7, v43
	v_mul_u32_u24_e32 v10, 0x5a, v6
	s_delay_alu instid0(VALU_DEP_1) | instskip(SKIP_2) | instid1(VALU_DEP_3)
	v_dual_add_f32 v6, v23, v39 :: v_dual_lshlrev_b32 v39, 2, v10
	v_dual_fmac_f32 v13, -0.5, v20 :: v_dual_add_f32 v20, v8, v22
	v_fmamk_f32 v22, v18, 0x3f5db3d7, v15
	v_dual_fmac_f32 v15, 0xbf5db3d7, v18 :: v_dual_add_nc_u32 v42, v41, v39
	s_delay_alu instid0(VALU_DEP_3)
	v_fmamk_f32 v18, v21, 0x3f5db3d7, v13
	v_fmac_f32_e32 v13, 0xbf5db3d7, v21
	v_add_nc_u32_e32 v41, v17, v39
	v_fmamk_f32 v21, v38, 0x3f5db3d7, v11
	v_fmac_f32_e32 v11, 0xbf5db3d7, v38
	ds_store_2addr_b32 v42, v15, v13 offset0:2 offset1:29
	ds_store_2addr_b32 v42, v44, v22 offset1:1
	ds_store_2addr_b32 v42, v19, v18 offset0:27 offset1:28
	ds_store_2addr_b32 v41, v20, v21 offset1:1
	ds_store_b32 v41, v11 offset:8
	s_and_saveexec_b32 s1, s0
	s_cbranch_execz .LBB0_14
; %bb.13:
	v_lshl_add_u32 v10, v10, 2, v17
	ds_store_2addr_b32 v10, v6, v7 offset0:27 offset1:28
	ds_store_b32 v10, v4 offset:116
.LBB0_14:
	s_wait_alu 0xfffe
	s_or_b32 exec_lo, exec_lo, s1
	v_lshlrev_b32_e32 v10, 2, v3
	global_wb scope:SCOPE_SE
	s_wait_dscnt 0x0
	s_barrier_signal -1
	s_barrier_wait -1
	global_inv scope:SCOPE_SE
	v_add3_u32 v37, 0, v39, v10
	v_add3_u32 v38, 0, v10, v39
	v_add_nc_u32_e32 v13, 0x6c, v42
	ds_load_b32 v40, v37
	ds_load_2addr_b32 v[21:22], v38 offset0:30 offset1:39
	ds_load_2addr_b32 v[17:18], v38 offset0:48 offset1:60
	;; [unrolled: 1-line block ×4, first 2 shown]
	s_and_saveexec_b32 s1, s0
	s_cbranch_execz .LBB0_16
; %bb.15:
	ds_load_2addr_b32 v[6:7], v38 offset0:27 offset1:57
	ds_load_b32 v4, v38 offset:348
.LBB0_16:
	s_wait_alu 0xfffe
	s_or_b32 exec_lo, exec_lo, s1
	v_sub_f32_e32 v33, v35, v33
	v_add_f32_e32 v35, v30, v32
	v_add_f32_e32 v15, v34, v36
	v_dual_add_f32 v36, v36, v16 :: v_dual_sub_f32 v29, v31, v29
	global_wb scope:SCOPE_SE
	s_wait_dscnt 0x0
	s_barrier_signal -1
	v_dual_fmac_f32 v16, -0.5, v15 :: v_dual_add_f32 v15, v32, v14
	s_barrier_wait -1
	global_inv scope:SCOPE_SE
	v_sub_f32_e32 v8, v27, v8
	v_fmamk_f32 v32, v33, 0xbf5db3d7, v16
	v_fmac_f32_e32 v16, 0x3f5db3d7, v33
	v_dual_fmac_f32 v14, -0.5, v35 :: v_dual_add_f32 v31, v34, v36
	v_dual_add_f32 v15, v30, v15 :: v_dual_add_f32 v30, v9, v28
	s_delay_alu instid0(VALU_DEP_2) | instskip(SKIP_1) | instid1(VALU_DEP_3)
	v_dual_add_f32 v28, v28, v12 :: v_dual_fmamk_f32 v33, v29, 0xbf5db3d7, v14
	v_dual_fmac_f32 v14, 0x3f5db3d7, v29 :: v_dual_add_f32 v29, v24, v26
	v_fmac_f32_e32 v12, -0.5, v30
	v_dual_add_f32 v26, v26, v5 :: v_dual_sub_f32 v23, v25, v23
	v_add_nc_u32_e32 v27, 27, v3
	s_delay_alu instid0(VALU_DEP_4) | instskip(NEXT) | instid1(VALU_DEP_4)
	v_fmac_f32_e32 v5, -0.5, v29
	v_dual_add_f32 v25, v9, v28 :: v_dual_fmamk_f32 v28, v8, 0xbf5db3d7, v12
	v_fmac_f32_e32 v12, 0x3f5db3d7, v8
	s_delay_alu instid0(VALU_DEP_3)
	v_dual_add_f32 v8, v24, v26 :: v_dual_fmamk_f32 v9, v23, 0xbf5db3d7, v5
	v_fmac_f32_e32 v5, 0x3f5db3d7, v23
	ds_store_2addr_b32 v42, v31, v32 offset1:1
	ds_store_b32 v42, v16 offset:8
	ds_store_2addr_b32 v13, v15, v33 offset1:1
	ds_store_b32 v13, v14 offset:8
	ds_store_2addr_b32 v41, v25, v28 offset1:1
	ds_store_b32 v41, v12 offset:8
	s_and_saveexec_b32 s1, s0
	s_cbranch_execz .LBB0_18
; %bb.17:
	v_mul_u32_u24_e32 v12, 12, v27
	s_delay_alu instid0(VALU_DEP_1)
	v_add3_u32 v12, 0, v12, v39
	ds_store_2addr_b32 v12, v8, v9 offset1:1
	ds_store_b32 v12, v5 offset:8
.LBB0_18:
	s_wait_alu 0xfffe
	s_or_b32 exec_lo, exec_lo, s1
	global_wb scope:SCOPE_SE
	s_wait_dscnt 0x0
	s_barrier_signal -1
	s_barrier_wait -1
	global_inv scope:SCOPE_SE
	ds_load_b32 v16, v37
	ds_load_2addr_b32 v[25:26], v38 offset0:30 offset1:39
	ds_load_2addr_b32 v[14:15], v38 offset0:48 offset1:60
	;; [unrolled: 1-line block ×4, first 2 shown]
	s_and_saveexec_b32 s1, s0
	s_cbranch_execz .LBB0_20
; %bb.19:
	ds_load_2addr_b32 v[8:9], v38 offset0:27 offset1:57
	ds_load_b32 v5, v38 offset:348
.LBB0_20:
	s_wait_alu 0xfffe
	s_or_b32 exec_lo, exec_lo, s1
	v_and_b32_e32 v28, 0xff, v3
	v_add_nc_u16 v29, v3, 9
	v_and_b32_e32 v34, 0xff, v27
	v_add_nc_u16 v30, v3, 18
	s_delay_alu instid0(VALU_DEP_4) | instskip(NEXT) | instid1(VALU_DEP_4)
	v_mul_lo_u16 v28, 0xab, v28
	v_and_b32_e32 v31, 0xff, v29
	s_delay_alu instid0(VALU_DEP_4) | instskip(NEXT) | instid1(VALU_DEP_3)
	v_mul_lo_u16 v34, 0xab, v34
	v_lshrrev_b16 v28, 9, v28
	s_delay_alu instid0(VALU_DEP_3) | instskip(NEXT) | instid1(VALU_DEP_3)
	v_mul_lo_u16 v31, 0xab, v31
	v_lshrrev_b16 v34, 9, v34
	s_delay_alu instid0(VALU_DEP_3) | instskip(NEXT) | instid1(VALU_DEP_3)
	;; [unrolled: 3-line block ×3, first 2 shown]
	v_mul_lo_u16 v34, v34, 3
	v_sub_nc_u16 v33, v3, v33
	s_delay_alu instid0(VALU_DEP_3) | instskip(NEXT) | instid1(VALU_DEP_3)
	v_mul_lo_u16 v35, v31, 3
	v_sub_nc_u16 v27, v27, v34
	s_delay_alu instid0(VALU_DEP_3) | instskip(NEXT) | instid1(VALU_DEP_3)
	v_and_b32_e32 v33, 0xff, v33
	v_sub_nc_u16 v29, v29, v35
	s_delay_alu instid0(VALU_DEP_2) | instskip(NEXT) | instid1(VALU_DEP_2)
	v_lshlrev_b32_e32 v35, 4, v33
	v_and_b32_e32 v29, 0xff, v29
	v_lshlrev_b32_e32 v33, 2, v33
	global_load_b128 v[41:44], v35, s[4:5]
	v_lshlrev_b32_e32 v34, 4, v29
	global_load_b128 v[45:48], v34, s[4:5]
	v_and_b32_e32 v28, 0xffff, v28
	v_and_b32_e32 v32, 0xff, v30
	;; [unrolled: 1-line block ×3, first 2 shown]
	s_delay_alu instid0(VALU_DEP_3) | instskip(NEXT) | instid1(VALU_DEP_2)
	v_mad_u32_u24 v28, v28, 36, 0
	v_lshlrev_b32_e32 v34, 4, v27
	s_delay_alu instid0(VALU_DEP_2) | instskip(SKIP_4) | instid1(VALU_DEP_2)
	v_add3_u32 v28, v28, v33, v39
	s_wait_loadcnt 0x1
	v_mul_f32_e32 v33, v18, v44
	v_mul_lo_u16 v32, 0xab, v32
	s_wait_dscnt 0x2
	v_fmac_f32_e32 v33, v15, v43
	s_delay_alu instid0(VALU_DEP_2) | instskip(NEXT) | instid1(VALU_DEP_1)
	v_lshrrev_b16 v32, 9, v32
	v_mul_lo_u16 v36, v32, 3
	s_delay_alu instid0(VALU_DEP_1) | instskip(SKIP_2) | instid1(VALU_DEP_2)
	v_sub_nc_u16 v30, v30, v36
	s_wait_loadcnt 0x0
	v_dual_mul_f32 v36, v15, v44 :: v_dual_mul_f32 v15, v22, v46
	v_and_b32_e32 v30, 0xff, v30
	s_delay_alu instid0(VALU_DEP_2) | instskip(NEXT) | instid1(VALU_DEP_2)
	v_fma_f32 v36, v18, v43, -v36
	v_lshlrev_b32_e32 v35, 4, v30
	s_clause 0x1
	global_load_b128 v[49:52], v35, s[4:5]
	global_load_b128 v[53:56], v34, s[4:5]
	v_and_b32_e32 v32, 0xffff, v32
	v_and_b32_e32 v31, 0xffff, v31
	v_lshlrev_b32_e32 v30, 2, v30
	v_mul_f32_e32 v34, v21, v42
	global_wb scope:SCOPE_SE
	s_wait_loadcnt_dscnt 0x0
	v_mad_u32_u24 v32, v32, 36, 0
	v_mad_u32_u24 v31, v31, 36, 0
	s_barrier_signal -1
	v_dual_fmac_f32 v34, v25, v41 :: v_dual_lshlrev_b32 v27, 2, v27
	s_delay_alu instid0(VALU_DEP_3)
	v_add3_u32 v30, v32, v30, v39
	s_barrier_wait -1
	global_inv scope:SCOPE_SE
	v_mul_f32_e32 v32, v17, v50
	v_dual_mul_f32 v18, v4, v56 :: v_dual_lshlrev_b32 v29, 2, v29
	v_dual_mul_f32 v43, v14, v50 :: v_dual_mul_f32 v44, v24, v52
	s_delay_alu instid0(VALU_DEP_3) | instskip(NEXT) | instid1(VALU_DEP_3)
	v_fmac_f32_e32 v32, v14, v49
	v_fmac_f32_e32 v18, v5, v55
	s_delay_alu instid0(VALU_DEP_4) | instskip(SKIP_4) | instid1(VALU_DEP_4)
	v_add3_u32 v29, v31, v29, v39
	v_mul_f32_e32 v31, v25, v42
	v_mul_f32_e32 v25, v19, v48
	;; [unrolled: 1-line block ×4, first 2 shown]
	v_fma_f32 v35, v21, v41, -v31
	v_mul_f32_e32 v41, v26, v46
	v_mul_f32_e32 v31, v20, v52
	;; [unrolled: 1-line block ×3, first 2 shown]
	v_fma_f32 v20, v20, v51, -v44
	v_fmac_f32_e32 v25, v23, v47
	v_fma_f32 v41, v22, v45, -v41
	v_fma_f32 v22, v17, v49, -v43
	v_fmac_f32_e32 v31, v24, v51
	v_fmac_f32_e32 v21, v9, v53
	v_dual_mul_f32 v46, v9, v54 :: v_dual_fmac_f32 v15, v26, v45
	s_delay_alu instid0(VALU_DEP_4)
	v_add_f32_e32 v24, v22, v20
	v_fma_f32 v26, v19, v47, -v42
	v_fma_f32 v19, v4, v55, -v48
	v_sub_f32_e32 v4, v34, v33
	v_dual_sub_f32 v42, v32, v31 :: v_dual_add_f32 v23, v11, v22
	v_fmac_f32_e32 v11, -0.5, v24
	v_add_f32_e32 v9, v35, v36
	v_fma_f32 v17, v7, v53, -v46
	v_dual_add_f32 v7, v40, v35 :: v_dual_sub_f32 v14, v15, v25
	s_delay_alu instid0(VALU_DEP_3) | instskip(NEXT) | instid1(VALU_DEP_1)
	v_dual_fmac_f32 v40, -0.5, v9 :: v_dual_add_f32 v9, v41, v26
	v_fma_f32 v9, -0.5, v9, v10
	s_delay_alu instid0(VALU_DEP_3) | instskip(SKIP_1) | instid1(VALU_DEP_4)
	v_add_f32_e32 v5, v7, v36
	v_add_f32_e32 v7, v10, v41
	v_fmamk_f32 v43, v4, 0x3f5db3d7, v40
	v_fmac_f32_e32 v40, 0xbf5db3d7, v4
	v_fmamk_f32 v10, v14, 0x3f5db3d7, v9
	v_fmac_f32_e32 v9, 0xbf5db3d7, v14
	v_add_f32_e32 v4, v7, v26
	v_dual_add_f32 v7, v23, v20 :: v_dual_fmamk_f32 v14, v42, 0x3f5db3d7, v11
	v_fmac_f32_e32 v11, 0xbf5db3d7, v42
	ds_store_2addr_b32 v28, v5, v43 offset1:3
	ds_store_b32 v28, v40 offset:24
	ds_store_2addr_b32 v29, v4, v10 offset1:3
	ds_store_b32 v29, v9 offset:24
	;; [unrolled: 2-line block ×3, first 2 shown]
	s_and_saveexec_b32 s1, s0
	s_cbranch_execz .LBB0_22
; %bb.21:
	v_dual_add_f32 v4, v17, v19 :: v_dual_add_f32 v7, v6, v17
	v_sub_f32_e32 v5, v21, v18
	s_delay_alu instid0(VALU_DEP_2) | instskip(SKIP_1) | instid1(VALU_DEP_4)
	v_fma_f32 v4, -0.5, v4, v6
	v_add3_u32 v6, 0, v27, v39
	v_add_f32_e32 v7, v7, v19
	s_delay_alu instid0(VALU_DEP_3)
	v_fmamk_f32 v9, v5, 0xbf5db3d7, v4
	v_fmac_f32_e32 v4, 0x3f5db3d7, v5
	ds_store_2addr_b32 v6, v7, v4 offset0:81 offset1:84
	ds_store_b32 v6, v9 offset:348
.LBB0_22:
	s_wait_alu 0xfffe
	s_or_b32 exec_lo, exec_lo, s1
	v_dual_add_f32 v4, v34, v33 :: v_dual_add_f32 v5, v16, v34
	v_dual_sub_f32 v6, v35, v36 :: v_dual_add_f32 v23, v12, v15
	s_delay_alu instid0(VALU_DEP_2) | instskip(SKIP_1) | instid1(VALU_DEP_4)
	v_dual_add_f32 v7, v15, v25 :: v_dual_fmac_f32 v16, -0.5, v4
	v_dual_sub_f32 v24, v41, v26 :: v_dual_add_f32 v35, v32, v31
	v_add_f32_e32 v26, v5, v33
	s_delay_alu instid0(VALU_DEP_3) | instskip(NEXT) | instid1(VALU_DEP_4)
	v_fma_f32 v33, -0.5, v7, v12
	v_fmamk_f32 v34, v6, 0xbf5db3d7, v16
	v_fmac_f32_e32 v16, 0x3f5db3d7, v6
	global_wb scope:SCOPE_SE
	s_wait_dscnt 0x0
	s_barrier_signal -1
	s_barrier_wait -1
	global_inv scope:SCOPE_SE
	ds_load_2addr_b32 v[4:5], v38 offset0:9 offset1:18
	ds_load_2addr_b32 v[9:10], v38 offset0:27 offset1:36
	;; [unrolled: 1-line block ×4, first 2 shown]
	ds_load_b32 v14, v37
	ds_load_b32 v15, v38 offset:324
	v_sub_f32_e32 v20, v22, v20
	v_dual_add_f32 v32, v13, v32 :: v_dual_fmac_f32 v13, -0.5, v35
	v_dual_add_f32 v22, v23, v25 :: v_dual_fmamk_f32 v23, v24, 0xbf5db3d7, v33
	v_fmac_f32_e32 v33, 0x3f5db3d7, v24
	global_wb scope:SCOPE_SE
	s_wait_dscnt 0x0
	v_fmamk_f32 v25, v20, 0xbf5db3d7, v13
	v_dual_fmac_f32 v13, 0x3f5db3d7, v20 :: v_dual_add_f32 v24, v32, v31
	s_barrier_signal -1
	s_barrier_wait -1
	global_inv scope:SCOPE_SE
	ds_store_2addr_b32 v28, v26, v34 offset1:3
	ds_store_b32 v28, v16 offset:24
	ds_store_2addr_b32 v29, v22, v23 offset1:3
	ds_store_b32 v29, v33 offset:24
	ds_store_2addr_b32 v30, v24, v25 offset1:3
	ds_store_b32 v30, v13 offset:24
	s_and_saveexec_b32 s1, s0
	s_cbranch_execz .LBB0_24
; %bb.23:
	v_dual_add_f32 v13, v21, v18 :: v_dual_add_f32 v16, v8, v21
	s_delay_alu instid0(VALU_DEP_1) | instskip(SKIP_1) | instid1(VALU_DEP_3)
	v_dual_sub_f32 v17, v17, v19 :: v_dual_fmac_f32 v8, -0.5, v13
	v_add3_u32 v13, 0, v27, v39
	v_add_f32_e32 v16, v16, v18
	s_delay_alu instid0(VALU_DEP_3)
	v_fmamk_f32 v18, v17, 0xbf5db3d7, v8
	v_fmamk_f32 v8, v17, 0x3f5db3d7, v8
	ds_store_2addr_b32 v13, v16, v18 offset0:81 offset1:84
	ds_store_b32 v13, v8 offset:348
.LBB0_24:
	s_wait_alu 0xfffe
	s_or_b32 exec_lo, exec_lo, s1
	global_wb scope:SCOPE_SE
	s_wait_dscnt 0x0
	s_barrier_signal -1
	s_barrier_wait -1
	global_inv scope:SCOPE_SE
	s_and_saveexec_b32 s0, vcc_lo
	s_cbranch_execz .LBB0_26
; %bb.25:
	v_mul_u32_u24_e32 v3, 9, v3
	v_add_co_u32 v0, vcc_lo, s8, v0
	s_wait_alu 0xfffd
	v_add_co_ci_u32_e32 v1, vcc_lo, s9, v1, vcc_lo
	s_delay_alu instid0(VALU_DEP_3)
	v_lshlrev_b32_e32 v3, 3, v3
	s_clause 0x4
	global_load_b128 v[16:19], v3, s[4:5] offset:48
	global_load_b128 v[20:23], v3, s[4:5] offset:64
	;; [unrolled: 1-line block ×4, first 2 shown]
	global_load_b64 v[32:33], v3, s[4:5] offset:112
	ds_load_2addr_b32 v[34:35], v38 offset0:27 offset1:36
	ds_load_2addr_b32 v[39:40], v38 offset0:45 offset1:54
	;; [unrolled: 1-line block ×4, first 2 shown]
	ds_load_b32 v8, v38 offset:324
	v_mov_b32_e32 v3, 0
	ds_load_b32 v13, v37
	v_lshlrev_b64_e32 v[2:3], 3, v[2:3]
	s_delay_alu instid0(VALU_DEP_1) | instskip(SKIP_1) | instid1(VALU_DEP_2)
	v_add_co_u32 v0, vcc_lo, v0, v2
	s_wait_alu 0xfffd
	v_add_co_ci_u32_e32 v1, vcc_lo, v1, v3, vcc_lo
	s_wait_loadcnt 0x4
	v_mul_f32_e32 v2, v5, v19
	s_wait_loadcnt_dscnt 0x305
	v_mul_f32_e32 v38, v34, v21
	v_mul_f32_e32 v3, v10, v23
	s_wait_loadcnt 0x2
	v_dual_mul_f32 v36, v7, v27 :: v_dual_mul_f32 v21, v9, v21
	s_wait_loadcnt_dscnt 0x103
	v_dual_mul_f32 v37, v12, v31 :: v_dual_mul_f32 v48, v41, v17
	v_dual_mul_f32 v23, v35, v23 :: v_dual_fmac_f32 v2, v42, v18
	s_wait_loadcnt_dscnt 0x1
	v_mul_f32_e32 v46, v8, v33
	v_fma_f32 v9, v9, v20, -v38
	v_mul_f32_e32 v33, v15, v33
	v_dual_mul_f32 v19, v42, v19 :: v_dual_fmac_f32 v36, v44, v26
	v_fma_f32 v10, v10, v22, -v23
	v_mul_f32_e32 v31, v40, v31
	v_fma_f32 v15, v15, v32, -v46
	v_mul_f32_e32 v17, v4, v17
	v_fmac_f32_e32 v33, v32, v8
	v_fmac_f32_e32 v21, v20, v34
	;; [unrolled: 1-line block ×4, first 2 shown]
	v_fma_f32 v12, v12, v30, -v31
	v_fma_f32 v4, v4, v16, -v48
	v_dual_add_f32 v42, v9, v15 :: v_dual_fmac_f32 v17, v16, v41
	v_sub_f32_e32 v16, v36, v37
	v_dual_mul_f32 v27, v44, v27 :: v_dual_add_f32 v20, v3, v37
	v_dual_mul_f32 v45, v39, v29 :: v_dual_sub_f32 v8, v2, v3
	s_wait_dscnt 0x0
	v_add_f32_e32 v46, v2, v13
	s_delay_alu instid0(VALU_DEP_3)
	v_fma_f32 v7, v7, v26, -v27
	v_sub_f32_e32 v26, v21, v33
	v_dual_mul_f32 v29, v11, v29 :: v_dual_sub_f32 v38, v37, v36
	v_fma_f32 v11, v11, v28, -v45
	v_mul_f32_e32 v47, v43, v25
	v_mul_f32_e32 v25, v6, v25
	s_delay_alu instid0(VALU_DEP_4)
	v_fmac_f32_e32 v29, v28, v39
	v_dual_add_f32 v39, v2, v36 :: v_dual_sub_f32 v50, v3, v37
	v_sub_f32_e32 v22, v9, v11
	v_fma_f32 v6, v6, v24, -v47
	v_dual_fmac_f32 v25, v24, v43 :: v_dual_sub_f32 v40, v11, v9
	v_fma_f32 v5, v5, v18, -v19
	s_delay_alu instid0(VALU_DEP_3) | instskip(NEXT) | instid1(VALU_DEP_3)
	v_dual_sub_f32 v18, v10, v12 :: v_dual_sub_f32 v23, v15, v6
	v_add_f32_e32 v34, v29, v25
	v_add_f32_e32 v24, v11, v6
	v_sub_f32_e32 v30, v33, v25
	v_dual_sub_f32 v28, v21, v29 :: v_dual_sub_f32 v31, v11, v6
	v_sub_f32_e32 v44, v25, v33
	v_dual_sub_f32 v32, v9, v15 :: v_dual_sub_f32 v35, v3, v2
	v_dual_add_f32 v8, v8, v16 :: v_dual_sub_f32 v41, v6, v15
	v_dual_sub_f32 v43, v29, v21 :: v_dual_sub_f32 v48, v7, v12
	v_fma_f32 v16, -0.5, v20, v13
	v_dual_add_f32 v20, v22, v23 :: v_dual_add_f32 v45, v21, v33
	v_fma_f32 v22, -0.5, v24, v4
	v_fma_f32 v24, -0.5, v34, v17
	v_add_f32_e32 v23, v28, v30
	v_fma_f32 v30, -0.5, v39, v13
	v_dual_sub_f32 v19, v5, v7 :: v_dual_sub_f32 v2, v2, v36
	v_dual_sub_f32 v27, v29, v25 :: v_dual_sub_f32 v52, v12, v7
	v_sub_f32_e32 v51, v10, v5
	v_add_f32_e32 v53, v5, v7
	v_dual_add_f32 v9, v9, v4 :: v_dual_add_f32 v28, v35, v38
	v_add_f32_e32 v13, v40, v41
	v_fma_f32 v34, -0.5, v42, v4
	v_add_f32_e32 v4, v43, v44
	v_fmamk_f32 v40, v18, 0xbf737871, v30
	v_dual_fmac_f32 v30, 0x3f737871, v18 :: v_dual_add_f32 v21, v21, v17
	v_add_f32_e32 v38, v51, v52
	v_fma_f32 v17, -0.5, v45, v17
	v_sub_f32_e32 v47, v5, v10
	v_add_f32_e32 v49, v10, v12
	v_add_f32_e32 v5, v14, v5
	v_fmamk_f32 v39, v19, 0x3f737871, v16
	v_fmamk_f32 v42, v31, 0xbf737871, v17
	v_dual_fmac_f32 v16, 0xbf737871, v19 :: v_dual_add_f32 v9, v11, v9
	v_fmamk_f32 v41, v27, 0x3f737871, v34
	v_dual_fmac_f32 v34, 0xbf737871, v27 :: v_dual_add_f32 v5, v5, v10
	v_fmac_f32_e32 v40, 0x3f167918, v19
	v_fmamk_f32 v10, v26, 0xbf737871, v22
	v_dual_fmac_f32 v42, 0x3f167918, v32 :: v_dual_add_f32 v3, v3, v46
	v_dual_add_f32 v6, v6, v9 :: v_dual_fmamk_f32 v11, v32, 0x3f737871, v24
	v_fmac_f32_e32 v24, 0xbf737871, v32
	v_fma_f32 v35, -0.5, v49, v14
	v_fma_f32 v14, -0.5, v53, v14
	s_delay_alu instid0(VALU_DEP_4) | instskip(SKIP_4) | instid1(VALU_DEP_3)
	v_dual_add_f32 v6, v15, v6 :: v_dual_add_f32 v21, v29, v21
	v_dual_add_f32 v29, v47, v48 :: v_dual_fmac_f32 v10, 0xbf167918, v27
	v_dual_fmac_f32 v22, 0x3f737871, v26 :: v_dual_add_f32 v3, v37, v3
	v_fmac_f32_e32 v34, 0x3f167918, v26
	v_dual_fmac_f32 v41, 0xbf167918, v26 :: v_dual_fmac_f32 v24, 0xbf167918, v31
	v_fmac_f32_e32 v22, 0x3f167918, v27
	s_delay_alu instid0(VALU_DEP_4) | instskip(SKIP_1) | instid1(VALU_DEP_4)
	v_dual_add_f32 v9, v36, v3 :: v_dual_fmac_f32 v10, 0x3e9e377a, v20
	v_dual_add_f32 v5, v5, v12 :: v_dual_fmac_f32 v16, 0xbf167918, v18
	v_fmac_f32_e32 v24, 0x3e9e377a, v23
	s_delay_alu instid0(VALU_DEP_4)
	v_fmac_f32_e32 v22, 0x3e9e377a, v20
	v_fmac_f32_e32 v30, 0xbf167918, v19
	;; [unrolled: 1-line block ×3, first 2 shown]
	v_dual_add_f32 v7, v7, v5 :: v_dual_fmac_f32 v40, 0x3e9e377a, v28
	v_mul_f32_e32 v26, 0x3f167918, v24
	v_fmac_f32_e32 v42, 0x3e9e377a, v4
	v_fmac_f32_e32 v30, 0x3e9e377a, v28
	;; [unrolled: 1-line block ×3, first 2 shown]
	v_mul_f32_e32 v20, 0xbf167918, v22
	v_fmac_f32_e32 v26, 0x3f4f1bbd, v22
	v_fmamk_f32 v37, v50, 0x3f737871, v14
	v_dual_fmac_f32 v14, 0xbf737871, v50 :: v_dual_add_f32 v21, v25, v21
	v_fmac_f32_e32 v11, 0x3f167918, v31
	v_fmamk_f32 v25, v2, 0xbf737871, v35
	v_fmac_f32_e32 v34, 0x3e9e377a, v13
	s_delay_alu instid0(VALU_DEP_4) | instskip(NEXT) | instid1(VALU_DEP_4)
	v_fmac_f32_e32 v14, 0x3f167918, v2
	v_dual_add_f32 v12, v33, v21 :: v_dual_fmac_f32 v11, 0x3e9e377a, v23
	s_delay_alu instid0(VALU_DEP_1) | instskip(SKIP_2) | instid1(VALU_DEP_1)
	v_sub_f32_e32 v3, v9, v12
	v_add_f32_e32 v5, v9, v12
	v_mul_f32_e32 v9, 0x3e9e377a, v41
	v_fma_f32 v27, 0x3f737871, v42, -v9
	v_fmac_f32_e32 v35, 0x3f737871, v2
	s_delay_alu instid0(VALU_DEP_1) | instskip(NEXT) | instid1(VALU_DEP_1)
	v_fmac_f32_e32 v35, 0x3f167918, v50
	v_dual_fmac_f32 v14, 0x3e9e377a, v38 :: v_dual_fmac_f32 v35, 0x3e9e377a, v29
	s_delay_alu instid0(VALU_DEP_1) | instskip(SKIP_2) | instid1(VALU_DEP_1)
	v_sub_f32_e32 v12, v35, v26
	v_fmac_f32_e32 v37, 0xbf167918, v2
	v_dual_sub_f32 v2, v7, v6 :: v_dual_fmac_f32 v17, 0xbf167918, v32
	v_dual_fmac_f32 v17, 0x3e9e377a, v4 :: v_dual_add_f32 v4, v7, v6
	v_mul_f32_e32 v6, 0x3f4f1bbd, v11
	v_mul_f32_e32 v7, 0x3e9e377a, v42
	s_delay_alu instid0(VALU_DEP_3) | instskip(NEXT) | instid1(VALU_DEP_3)
	v_mul_f32_e32 v23, 0x3f737871, v17
	v_fma_f32 v15, 0xbf167918, v10, -v6
	s_delay_alu instid0(VALU_DEP_3) | instskip(NEXT) | instid1(VALU_DEP_3)
	v_fma_f32 v19, 0xbf737871, v41, -v7
	v_fmac_f32_e32 v23, 0x3e9e377a, v34
	v_fmac_f32_e32 v39, 0x3f167918, v18
	v_mul_f32_e32 v18, 0xbf737871, v34
	v_fmac_f32_e32 v25, 0xbf167918, v50
	v_dual_fmac_f32 v16, 0x3e9e377a, v8 :: v_dual_sub_f32 v9, v40, v19
	s_delay_alu instid0(VALU_DEP_3) | instskip(SKIP_3) | instid1(VALU_DEP_4)
	v_dual_fmac_f32 v39, 0x3e9e377a, v8 :: v_dual_fmac_f32 v18, 0x3e9e377a, v17
	v_mul_f32_e32 v8, 0x3f4f1bbd, v10
	v_dual_fmac_f32 v20, 0x3f4f1bbd, v24 :: v_dual_add_f32 v17, v40, v19
	v_sub_f32_e32 v10, v14, v23
	v_add_f32_e32 v19, v30, v18
	s_delay_alu instid0(VALU_DEP_4)
	v_fma_f32 v24, 0x3f167918, v11, -v8
	v_sub_f32_e32 v11, v30, v18
	v_dual_add_f32 v18, v14, v23 :: v_dual_fmac_f32 v25, 0x3e9e377a, v29
	v_sub_f32_e32 v7, v39, v15
	v_add_f32_e32 v15, v39, v15
	v_sub_f32_e32 v13, v16, v20
	v_add_f32_e32 v21, v16, v20
	v_dual_add_f32 v14, v25, v24 :: v_dual_fmac_f32 v37, 0x3e9e377a, v38
	v_add_f32_e32 v20, v35, v26
	v_sub_f32_e32 v6, v25, v24
	s_delay_alu instid0(VALU_DEP_3)
	v_add_f32_e32 v16, v37, v27
	v_sub_f32_e32 v8, v37, v27
	s_clause 0x9
	global_store_b64 v[0:1], v[4:5], off
	global_store_b64 v[0:1], v[20:21], off offset:72
	global_store_b64 v[0:1], v[18:19], off offset:144
	;; [unrolled: 1-line block ×9, first 2 shown]
.LBB0_26:
	s_nop 0
	s_sendmsg sendmsg(MSG_DEALLOC_VGPRS)
	s_endpgm
	.section	.rodata,"a",@progbits
	.p2align	6, 0x0
	.amdhsa_kernel fft_rtc_fwd_len90_factors_3_3_10_wgs_63_tpt_9_halfLds_sp_ip_CI_unitstride_sbrr_dirReg
		.amdhsa_group_segment_fixed_size 0
		.amdhsa_private_segment_fixed_size 0
		.amdhsa_kernarg_size 88
		.amdhsa_user_sgpr_count 2
		.amdhsa_user_sgpr_dispatch_ptr 0
		.amdhsa_user_sgpr_queue_ptr 0
		.amdhsa_user_sgpr_kernarg_segment_ptr 1
		.amdhsa_user_sgpr_dispatch_id 0
		.amdhsa_user_sgpr_private_segment_size 0
		.amdhsa_wavefront_size32 1
		.amdhsa_uses_dynamic_stack 0
		.amdhsa_enable_private_segment 0
		.amdhsa_system_sgpr_workgroup_id_x 1
		.amdhsa_system_sgpr_workgroup_id_y 0
		.amdhsa_system_sgpr_workgroup_id_z 0
		.amdhsa_system_sgpr_workgroup_info 0
		.amdhsa_system_vgpr_workitem_id 0
		.amdhsa_next_free_vgpr 57
		.amdhsa_next_free_sgpr 32
		.amdhsa_reserve_vcc 1
		.amdhsa_float_round_mode_32 0
		.amdhsa_float_round_mode_16_64 0
		.amdhsa_float_denorm_mode_32 3
		.amdhsa_float_denorm_mode_16_64 3
		.amdhsa_fp16_overflow 0
		.amdhsa_workgroup_processor_mode 1
		.amdhsa_memory_ordered 1
		.amdhsa_forward_progress 0
		.amdhsa_round_robin_scheduling 0
		.amdhsa_exception_fp_ieee_invalid_op 0
		.amdhsa_exception_fp_denorm_src 0
		.amdhsa_exception_fp_ieee_div_zero 0
		.amdhsa_exception_fp_ieee_overflow 0
		.amdhsa_exception_fp_ieee_underflow 0
		.amdhsa_exception_fp_ieee_inexact 0
		.amdhsa_exception_int_div_zero 0
	.end_amdhsa_kernel
	.text
.Lfunc_end0:
	.size	fft_rtc_fwd_len90_factors_3_3_10_wgs_63_tpt_9_halfLds_sp_ip_CI_unitstride_sbrr_dirReg, .Lfunc_end0-fft_rtc_fwd_len90_factors_3_3_10_wgs_63_tpt_9_halfLds_sp_ip_CI_unitstride_sbrr_dirReg
                                        ; -- End function
	.section	.AMDGPU.csdata,"",@progbits
; Kernel info:
; codeLenInByte = 5192
; NumSgprs: 34
; NumVgprs: 57
; ScratchSize: 0
; MemoryBound: 0
; FloatMode: 240
; IeeeMode: 1
; LDSByteSize: 0 bytes/workgroup (compile time only)
; SGPRBlocks: 4
; VGPRBlocks: 7
; NumSGPRsForWavesPerEU: 34
; NumVGPRsForWavesPerEU: 57
; Occupancy: 16
; WaveLimiterHint : 1
; COMPUTE_PGM_RSRC2:SCRATCH_EN: 0
; COMPUTE_PGM_RSRC2:USER_SGPR: 2
; COMPUTE_PGM_RSRC2:TRAP_HANDLER: 0
; COMPUTE_PGM_RSRC2:TGID_X_EN: 1
; COMPUTE_PGM_RSRC2:TGID_Y_EN: 0
; COMPUTE_PGM_RSRC2:TGID_Z_EN: 0
; COMPUTE_PGM_RSRC2:TIDIG_COMP_CNT: 0
	.text
	.p2alignl 7, 3214868480
	.fill 96, 4, 3214868480
	.type	__hip_cuid_d40c985d5949a13c,@object ; @__hip_cuid_d40c985d5949a13c
	.section	.bss,"aw",@nobits
	.globl	__hip_cuid_d40c985d5949a13c
__hip_cuid_d40c985d5949a13c:
	.byte	0                               ; 0x0
	.size	__hip_cuid_d40c985d5949a13c, 1

	.ident	"AMD clang version 19.0.0git (https://github.com/RadeonOpenCompute/llvm-project roc-6.4.0 25133 c7fe45cf4b819c5991fe208aaa96edf142730f1d)"
	.section	".note.GNU-stack","",@progbits
	.addrsig
	.addrsig_sym __hip_cuid_d40c985d5949a13c
	.amdgpu_metadata
---
amdhsa.kernels:
  - .args:
      - .actual_access:  read_only
        .address_space:  global
        .offset:         0
        .size:           8
        .value_kind:     global_buffer
      - .offset:         8
        .size:           8
        .value_kind:     by_value
      - .actual_access:  read_only
        .address_space:  global
        .offset:         16
        .size:           8
        .value_kind:     global_buffer
      - .actual_access:  read_only
        .address_space:  global
        .offset:         24
        .size:           8
        .value_kind:     global_buffer
      - .offset:         32
        .size:           8
        .value_kind:     by_value
      - .actual_access:  read_only
        .address_space:  global
        .offset:         40
        .size:           8
        .value_kind:     global_buffer
      - .actual_access:  read_only
        .address_space:  global
        .offset:         48
        .size:           8
        .value_kind:     global_buffer
      - .offset:         56
        .size:           4
        .value_kind:     by_value
      - .actual_access:  read_only
        .address_space:  global
        .offset:         64
        .size:           8
        .value_kind:     global_buffer
      - .actual_access:  read_only
        .address_space:  global
        .offset:         72
        .size:           8
        .value_kind:     global_buffer
      - .address_space:  global
        .offset:         80
        .size:           8
        .value_kind:     global_buffer
    .group_segment_fixed_size: 0
    .kernarg_segment_align: 8
    .kernarg_segment_size: 88
    .language:       OpenCL C
    .language_version:
      - 2
      - 0
    .max_flat_workgroup_size: 63
    .name:           fft_rtc_fwd_len90_factors_3_3_10_wgs_63_tpt_9_halfLds_sp_ip_CI_unitstride_sbrr_dirReg
    .private_segment_fixed_size: 0
    .sgpr_count:     34
    .sgpr_spill_count: 0
    .symbol:         fft_rtc_fwd_len90_factors_3_3_10_wgs_63_tpt_9_halfLds_sp_ip_CI_unitstride_sbrr_dirReg.kd
    .uniform_work_group_size: 1
    .uses_dynamic_stack: false
    .vgpr_count:     57
    .vgpr_spill_count: 0
    .wavefront_size: 32
    .workgroup_processor_mode: 1
amdhsa.target:   amdgcn-amd-amdhsa--gfx1201
amdhsa.version:
  - 1
  - 2
...

	.end_amdgpu_metadata
